;; amdgpu-corpus repo=ROCm/rocFFT kind=compiled arch=gfx1030 opt=O3
	.text
	.amdgcn_target "amdgcn-amd-amdhsa--gfx1030"
	.amdhsa_code_object_version 6
	.protected	fft_rtc_back_len416_factors_13_2_16_wgs_64_tpt_32_half_ip_CI_sbrr_dirReg ; -- Begin function fft_rtc_back_len416_factors_13_2_16_wgs_64_tpt_32_half_ip_CI_sbrr_dirReg
	.globl	fft_rtc_back_len416_factors_13_2_16_wgs_64_tpt_32_half_ip_CI_sbrr_dirReg
	.p2align	8
	.type	fft_rtc_back_len416_factors_13_2_16_wgs_64_tpt_32_half_ip_CI_sbrr_dirReg,@function
fft_rtc_back_len416_factors_13_2_16_wgs_64_tpt_32_half_ip_CI_sbrr_dirReg: ; @fft_rtc_back_len416_factors_13_2_16_wgs_64_tpt_32_half_ip_CI_sbrr_dirReg
; %bb.0:
	s_clause 0x2
	s_load_dwordx2 s[14:15], s[4:5], 0x18
	s_load_dwordx4 s[8:11], s[4:5], 0x0
	s_load_dwordx2 s[12:13], s[4:5], 0x50
	v_lshrrev_b32_e32 v1, 5, v0
	v_mov_b32_e32 v3, 0
	v_lshl_or_b32 v5, s6, 1, v1
	v_mov_b32_e32 v1, 0
	v_mov_b32_e32 v6, v3
	v_mov_b32_e32 v2, 0
	s_waitcnt lgkmcnt(0)
	s_load_dwordx2 s[2:3], s[14:15], 0x0
	v_cmp_lt_u64_e64 s0, s[10:11], 2
	s_and_b32 vcc_lo, exec_lo, s0
	s_cbranch_vccnz .LBB0_8
; %bb.1:
	s_load_dwordx2 s[0:1], s[4:5], 0x10
	v_mov_b32_e32 v1, 0
	s_add_u32 s6, s14, 8
	v_mov_b32_e32 v2, 0
	s_addc_u32 s7, s15, 0
	s_mov_b64 s[18:19], 1
	s_waitcnt lgkmcnt(0)
	s_add_u32 s16, s0, 8
	s_addc_u32 s17, s1, 0
.LBB0_2:                                ; =>This Inner Loop Header: Depth=1
	s_load_dwordx2 s[20:21], s[16:17], 0x0
                                        ; implicit-def: $vgpr7_vgpr8
	s_mov_b32 s0, exec_lo
	s_waitcnt lgkmcnt(0)
	v_or_b32_e32 v4, s21, v6
	v_cmpx_ne_u64_e32 0, v[3:4]
	s_xor_b32 s1, exec_lo, s0
	s_cbranch_execz .LBB0_4
; %bb.3:                                ;   in Loop: Header=BB0_2 Depth=1
	v_cvt_f32_u32_e32 v4, s20
	v_cvt_f32_u32_e32 v7, s21
	s_sub_u32 s0, 0, s20
	s_subb_u32 s22, 0, s21
	v_fmac_f32_e32 v4, 0x4f800000, v7
	v_rcp_f32_e32 v4, v4
	v_mul_f32_e32 v4, 0x5f7ffffc, v4
	v_mul_f32_e32 v7, 0x2f800000, v4
	v_trunc_f32_e32 v7, v7
	v_fmac_f32_e32 v4, 0xcf800000, v7
	v_cvt_u32_f32_e32 v7, v7
	v_cvt_u32_f32_e32 v4, v4
	v_mul_lo_u32 v8, s0, v7
	v_mul_hi_u32 v9, s0, v4
	v_mul_lo_u32 v10, s22, v4
	v_add_nc_u32_e32 v8, v9, v8
	v_mul_lo_u32 v9, s0, v4
	v_add_nc_u32_e32 v8, v8, v10
	v_mul_hi_u32 v10, v4, v9
	v_mul_lo_u32 v11, v4, v8
	v_mul_hi_u32 v12, v4, v8
	v_mul_hi_u32 v13, v7, v9
	v_mul_lo_u32 v9, v7, v9
	v_mul_hi_u32 v14, v7, v8
	v_mul_lo_u32 v8, v7, v8
	v_add_co_u32 v10, vcc_lo, v10, v11
	v_add_co_ci_u32_e32 v11, vcc_lo, 0, v12, vcc_lo
	v_add_co_u32 v9, vcc_lo, v10, v9
	v_add_co_ci_u32_e32 v9, vcc_lo, v11, v13, vcc_lo
	v_add_co_ci_u32_e32 v10, vcc_lo, 0, v14, vcc_lo
	v_add_co_u32 v8, vcc_lo, v9, v8
	v_add_co_ci_u32_e32 v9, vcc_lo, 0, v10, vcc_lo
	v_add_co_u32 v4, vcc_lo, v4, v8
	v_add_co_ci_u32_e32 v7, vcc_lo, v7, v9, vcc_lo
	v_mul_hi_u32 v8, s0, v4
	v_mul_lo_u32 v10, s22, v4
	v_mul_lo_u32 v9, s0, v7
	v_add_nc_u32_e32 v8, v8, v9
	v_mul_lo_u32 v9, s0, v4
	v_add_nc_u32_e32 v8, v8, v10
	v_mul_hi_u32 v10, v4, v9
	v_mul_lo_u32 v11, v4, v8
	v_mul_hi_u32 v12, v4, v8
	v_mul_hi_u32 v13, v7, v9
	v_mul_lo_u32 v9, v7, v9
	v_mul_hi_u32 v14, v7, v8
	v_mul_lo_u32 v8, v7, v8
	v_add_co_u32 v10, vcc_lo, v10, v11
	v_add_co_ci_u32_e32 v11, vcc_lo, 0, v12, vcc_lo
	v_add_co_u32 v9, vcc_lo, v10, v9
	v_add_co_ci_u32_e32 v9, vcc_lo, v11, v13, vcc_lo
	v_add_co_ci_u32_e32 v10, vcc_lo, 0, v14, vcc_lo
	v_add_co_u32 v8, vcc_lo, v9, v8
	v_add_co_ci_u32_e32 v9, vcc_lo, 0, v10, vcc_lo
	v_add_co_u32 v4, vcc_lo, v4, v8
	v_add_co_ci_u32_e32 v11, vcc_lo, v7, v9, vcc_lo
	v_mul_hi_u32 v13, v5, v4
	v_mad_u64_u32 v[9:10], null, v6, v4, 0
	v_mad_u64_u32 v[7:8], null, v5, v11, 0
	;; [unrolled: 1-line block ×3, first 2 shown]
	v_add_co_u32 v4, vcc_lo, v13, v7
	v_add_co_ci_u32_e32 v7, vcc_lo, 0, v8, vcc_lo
	v_add_co_u32 v4, vcc_lo, v4, v9
	v_add_co_ci_u32_e32 v4, vcc_lo, v7, v10, vcc_lo
	v_add_co_ci_u32_e32 v7, vcc_lo, 0, v12, vcc_lo
	v_add_co_u32 v4, vcc_lo, v4, v11
	v_add_co_ci_u32_e32 v9, vcc_lo, 0, v7, vcc_lo
	v_mul_lo_u32 v10, s21, v4
	v_mad_u64_u32 v[7:8], null, s20, v4, 0
	v_mul_lo_u32 v11, s20, v9
	v_sub_co_u32 v7, vcc_lo, v5, v7
	v_add3_u32 v8, v8, v11, v10
	v_sub_nc_u32_e32 v10, v6, v8
	v_subrev_co_ci_u32_e64 v10, s0, s21, v10, vcc_lo
	v_add_co_u32 v11, s0, v4, 2
	v_add_co_ci_u32_e64 v12, s0, 0, v9, s0
	v_sub_co_u32 v13, s0, v7, s20
	v_sub_co_ci_u32_e32 v8, vcc_lo, v6, v8, vcc_lo
	v_subrev_co_ci_u32_e64 v10, s0, 0, v10, s0
	v_cmp_le_u32_e32 vcc_lo, s20, v13
	v_cmp_eq_u32_e64 s0, s21, v8
	v_cndmask_b32_e64 v13, 0, -1, vcc_lo
	v_cmp_le_u32_e32 vcc_lo, s21, v10
	v_cndmask_b32_e64 v14, 0, -1, vcc_lo
	v_cmp_le_u32_e32 vcc_lo, s20, v7
	;; [unrolled: 2-line block ×3, first 2 shown]
	v_cndmask_b32_e64 v15, 0, -1, vcc_lo
	v_cmp_eq_u32_e32 vcc_lo, s21, v10
	v_cndmask_b32_e64 v7, v15, v7, s0
	v_cndmask_b32_e32 v10, v14, v13, vcc_lo
	v_add_co_u32 v13, vcc_lo, v4, 1
	v_add_co_ci_u32_e32 v14, vcc_lo, 0, v9, vcc_lo
	v_cmp_ne_u32_e32 vcc_lo, 0, v10
	v_cndmask_b32_e32 v8, v14, v12, vcc_lo
	v_cndmask_b32_e32 v10, v13, v11, vcc_lo
	v_cmp_ne_u32_e32 vcc_lo, 0, v7
	v_cndmask_b32_e32 v8, v9, v8, vcc_lo
	v_cndmask_b32_e32 v7, v4, v10, vcc_lo
.LBB0_4:                                ;   in Loop: Header=BB0_2 Depth=1
	s_andn2_saveexec_b32 s0, s1
	s_cbranch_execz .LBB0_6
; %bb.5:                                ;   in Loop: Header=BB0_2 Depth=1
	v_cvt_f32_u32_e32 v4, s20
	s_sub_i32 s1, 0, s20
	v_rcp_iflag_f32_e32 v4, v4
	v_mul_f32_e32 v4, 0x4f7ffffe, v4
	v_cvt_u32_f32_e32 v4, v4
	v_mul_lo_u32 v7, s1, v4
	v_mul_hi_u32 v7, v4, v7
	v_add_nc_u32_e32 v4, v4, v7
	v_mul_hi_u32 v4, v5, v4
	v_mul_lo_u32 v7, v4, s20
	v_add_nc_u32_e32 v8, 1, v4
	v_sub_nc_u32_e32 v7, v5, v7
	v_subrev_nc_u32_e32 v9, s20, v7
	v_cmp_le_u32_e32 vcc_lo, s20, v7
	v_cndmask_b32_e32 v7, v7, v9, vcc_lo
	v_cndmask_b32_e32 v4, v4, v8, vcc_lo
	v_cmp_le_u32_e32 vcc_lo, s20, v7
	v_add_nc_u32_e32 v8, 1, v4
	v_cndmask_b32_e32 v7, v4, v8, vcc_lo
	v_mov_b32_e32 v8, v3
.LBB0_6:                                ;   in Loop: Header=BB0_2 Depth=1
	s_or_b32 exec_lo, exec_lo, s0
	s_load_dwordx2 s[0:1], s[6:7], 0x0
	v_mul_lo_u32 v4, v8, s20
	v_mul_lo_u32 v11, v7, s21
	v_mad_u64_u32 v[9:10], null, v7, s20, 0
	s_add_u32 s18, s18, 1
	s_addc_u32 s19, s19, 0
	s_add_u32 s6, s6, 8
	s_addc_u32 s7, s7, 0
	;; [unrolled: 2-line block ×3, first 2 shown]
	v_add3_u32 v4, v10, v11, v4
	v_sub_co_u32 v5, vcc_lo, v5, v9
	v_sub_co_ci_u32_e32 v4, vcc_lo, v6, v4, vcc_lo
	s_waitcnt lgkmcnt(0)
	v_mul_lo_u32 v6, s1, v5
	v_mul_lo_u32 v4, s0, v4
	v_mad_u64_u32 v[1:2], null, s0, v5, v[1:2]
	v_cmp_ge_u64_e64 s0, s[18:19], s[10:11]
	s_and_b32 vcc_lo, exec_lo, s0
	v_add3_u32 v2, v6, v2, v4
	s_cbranch_vccnz .LBB0_9
; %bb.7:                                ;   in Loop: Header=BB0_2 Depth=1
	v_mov_b32_e32 v5, v7
	v_mov_b32_e32 v6, v8
	s_branch .LBB0_2
.LBB0_8:
	v_mov_b32_e32 v8, v6
	v_mov_b32_e32 v7, v5
.LBB0_9:
	s_lshl_b64 s[0:1], s[10:11], 3
	v_and_b32_e32 v31, 31, v0
	s_add_u32 s0, s14, s0
	s_addc_u32 s1, s15, s1
	s_load_dwordx2 s[0:1], s[0:1], 0x0
	s_load_dwordx2 s[4:5], s[4:5], 0x20
	v_or_b32_e32 v12, 32, v31
	v_or_b32_e32 v9, 64, v31
	;; [unrolled: 1-line block ×5, first 2 shown]
	s_waitcnt lgkmcnt(0)
	v_mul_lo_u32 v3, s0, v8
	v_mul_lo_u32 v4, s1, v7
	v_mad_u64_u32 v[1:2], null, s0, v7, v[1:2]
	v_cmp_gt_u64_e32 vcc_lo, s[4:5], v[7:8]
	v_cmp_le_u64_e64 s0, s[4:5], v[7:8]
	v_or_b32_e32 v7, 0xc0, v31
                                        ; implicit-def: $sgpr4
	v_add3_u32 v2, v4, v2, v3
	s_and_saveexec_b32 s1, s0
	s_xor_b32 s0, exec_lo, s1
; %bb.10:
	v_or_b32_e32 v12, 32, v31
	v_or_b32_e32 v9, 64, v31
	;; [unrolled: 1-line block ×6, first 2 shown]
	s_mov_b32 s4, 0
; %bb.11:
	s_or_saveexec_b32 s1, s0
	v_lshlrev_b64 v[15:16], 2, v[1:2]
	v_mov_b32_e32 v1, s4
                                        ; implicit-def: $vgpr8
                                        ; implicit-def: $vgpr13
                                        ; implicit-def: $vgpr17
                                        ; implicit-def: $vgpr18
                                        ; implicit-def: $vgpr20
                                        ; implicit-def: $vgpr19
                                        ; implicit-def: $vgpr21
                                        ; implicit-def: $vgpr14
                                        ; implicit-def: $vgpr22
                                        ; implicit-def: $vgpr5
                                        ; implicit-def: $vgpr23
                                        ; implicit-def: $vgpr4
	s_xor_b32 exec_lo, exec_lo, s1
	s_cbranch_execz .LBB0_13
; %bb.12:
	v_mad_u64_u32 v[1:2], null, s2, v31, 0
	v_mad_u64_u32 v[3:4], null, s2, v12, 0
	;; [unrolled: 1-line block ×4, first 2 shown]
	v_add_co_u32 v8, s0, s12, v15
	v_mad_u64_u32 v[17:18], null, s3, v31, v[2:3]
	v_mov_b32_e32 v2, v14
	v_mad_u64_u32 v[18:19], null, s2, v6, 0
	v_mad_u64_u32 v[4:5], null, s3, v12, v[4:5]
	;; [unrolled: 1-line block ×4, first 2 shown]
	v_mov_b32_e32 v5, v19
	v_mov_b32_e32 v2, v17
	v_or_b32_e32 v32, 0xe0, v31
	v_add_co_ci_u32_e64 v30, s0, s13, v16, s0
	v_mov_b32_e32 v14, v20
	v_mad_u64_u32 v[19:20], null, s3, v6, v[5:6]
	v_mov_b32_e32 v5, v22
	v_lshlrev_b64 v[1:2], 2, v[1:2]
	v_lshlrev_b64 v[3:4], 2, v[3:4]
	;; [unrolled: 1-line block ×3, first 2 shown]
	v_or_b32_e32 v36, 0x100, v31
	v_mad_u64_u32 v[25:26], null, s3, v10, v[5:6]
	v_mov_b32_e32 v5, v24
	v_lshlrev_b64 v[17:18], 2, v[18:19]
	v_mad_u64_u32 v[19:20], null, s2, v7, 0
	v_add_co_u32 v1, s0, v8, v1
	v_mov_b32_e32 v22, v25
	v_mad_u64_u32 v[24:25], null, s3, v11, v[5:6]
	v_mad_u64_u32 v[25:26], null, s2, v32, 0
	v_add_co_ci_u32_e64 v2, s0, v30, v2, s0
	v_add_co_u32 v3, s0, v8, v3
	v_mov_b32_e32 v5, v20
	v_add_co_ci_u32_e64 v4, s0, v30, v4, s0
	v_add_co_u32 v13, s0, v8, v13
	v_lshlrev_b64 v[21:22], 2, v[21:22]
	v_add_co_ci_u32_e64 v14, s0, v30, v14, s0
	v_add_co_u32 v17, s0, v8, v17
	v_mad_u64_u32 v[27:28], null, s3, v7, v[5:6]
	v_mov_b32_e32 v5, v26
	v_add_co_ci_u32_e64 v18, s0, v30, v18, s0
	v_add_co_u32 v28, s0, v8, v21
	v_add_co_ci_u32_e64 v29, s0, v30, v22, s0
	v_lshlrev_b64 v[21:22], 2, v[23:24]
	v_mad_u64_u32 v[23:24], null, s3, v32, v[5:6]
	v_mad_u64_u32 v[32:33], null, s2, v36, 0
	v_mov_b32_e32 v20, v27
	v_or_b32_e32 v27, 0x120, v31
	v_add_co_u32 v34, s0, v8, v21
	v_add_co_ci_u32_e64 v35, s0, v30, v22, s0
	v_mov_b32_e32 v5, v33
	v_or_b32_e32 v40, 0x140, v31
	v_mad_u64_u32 v[21:22], null, s2, v27, 0
	v_mov_b32_e32 v26, v23
	v_mad_u64_u32 v[23:24], null, s3, v36, v[5:6]
	v_mad_u64_u32 v[36:37], null, s2, v40, 0
	v_lshlrev_b64 v[19:20], 2, v[19:20]
	v_mov_b32_e32 v5, v22
	v_or_b32_e32 v42, 0x160, v31
	v_or_b32_e32 v43, 0x180, v31
	v_mov_b32_e32 v33, v23
	v_mad_u64_u32 v[22:23], null, s3, v27, v[5:6]
	v_mov_b32_e32 v5, v37
	v_add_co_u32 v38, s0, v8, v19
	v_mad_u64_u32 v[23:24], null, s2, v42, 0
	v_add_co_ci_u32_e64 v39, s0, v30, v20, s0
	v_lshlrev_b64 v[19:20], 2, v[25:26]
	v_mad_u64_u32 v[25:26], null, s3, v40, v[5:6]
	v_mad_u64_u32 v[26:27], null, s2, v43, 0
	v_mov_b32_e32 v5, v24
	v_add_co_u32 v40, s0, v8, v19
	v_add_co_ci_u32_e64 v41, s0, v30, v20, s0
	v_lshlrev_b64 v[19:20], 2, v[32:33]
	v_mov_b32_e32 v37, v25
	v_mad_u64_u32 v[24:25], null, s3, v42, v[5:6]
	v_mov_b32_e32 v5, v27
	v_add_co_u32 v32, s0, v8, v19
	v_add_co_ci_u32_e64 v33, s0, v30, v20, s0
	v_lshlrev_b64 v[19:20], 2, v[21:22]
	v_mad_u64_u32 v[21:22], null, s3, v43, v[5:6]
	v_lshlrev_b64 v[36:37], 2, v[36:37]
	v_add_co_u32 v42, s0, v8, v19
	v_add_co_ci_u32_e64 v43, s0, v30, v20, s0
	v_mov_b32_e32 v27, v21
	v_lshlrev_b64 v[19:20], 2, v[23:24]
	v_add_co_u32 v24, s0, v8, v36
	v_add_co_ci_u32_e64 v25, s0, v30, v37, s0
	v_lshlrev_b64 v[21:22], 2, v[26:27]
	v_add_co_u32 v26, s0, v8, v19
	v_add_co_ci_u32_e64 v27, s0, v30, v20, s0
	v_add_co_u32 v36, s0, v8, v21
	v_add_co_ci_u32_e64 v37, s0, v30, v22, s0
	s_clause 0xc
	global_load_dword v1, v[1:2], off
	global_load_dword v23, v[3:4], off
	;; [unrolled: 1-line block ×13, first 2 shown]
.LBB0_13:
	s_or_b32 exec_lo, exec_lo, s1
	s_waitcnt vmcnt(0)
	v_pk_add_f16 v24, v23, v4
	v_pk_add_f16 v25, v23, v4 neg_lo:[0,1] neg_hi:[0,1]
	v_pk_add_f16 v23, v23, v1
	v_pk_add_f16 v34, v22, v5
	v_pk_add_f16 v35, v22, v5 neg_lo:[0,1] neg_hi:[0,1]
	v_lshrrev_b32_e32 v2, 16, v24
	v_mul_f16_e32 v26, 0xb770, v25
	v_mul_f16_e32 v27, 0xba95, v25
	;; [unrolled: 1-line block ×5, first 2 shown]
	v_pk_add_f16 v22, v22, v23
	v_fma_f16 v29, v2, 0x3b15, -v26
	v_fmac_f16_e32 v26, 0x3b15, v2
	v_fma_f16 v30, v2, 0x388b, -v27
	v_fmac_f16_e32 v27, 0x388b, v2
	;; [unrolled: 2-line block ×5, first 2 shown]
	v_pk_add_f16 v2, v21, v14
	v_pk_add_f16 v3, v21, v14 neg_lo:[0,1] neg_hi:[0,1]
	v_pk_add_f16 v21, v21, v22
	v_pk_add_f16 v22, v20, v19
	v_pk_add_f16 v57, v20, v19 neg_lo:[0,1] neg_hi:[0,1]
	v_lshrrev_b32_e32 v38, 16, v34
	v_mul_f16_e32 v39, 0xba95, v35
	v_pk_add_f16 v20, v20, v21
	v_mul_f16_e32 v41, 0xbb7b, v35
	v_mul_f16_e32 v42, 0xb3a8, v35
	v_mul_f16_e32 v46, 0x394e, v35
	v_mul_f16_e32 v47, 0x3bf1, v35
	v_pk_add_f16 v20, v17, v20
	v_lshrrev_b32_e32 v49, 16, v2
	v_mul_f16_e32 v50, 0xbbf1, v3
	v_mul_f16_e32 v52, 0xb3a8, v3
	;; [unrolled: 1-line block ×3, first 2 shown]
	v_pk_add_f16 v20, v8, v20
	v_mul_f16_e32 v55, 0x3770, v3
	v_mul_f16_e32 v58, 0xba95, v3
	v_lshrrev_b32_e32 v21, 16, v22
	v_mul_f16_e32 v59, 0xbb7b, v57
	v_pk_add_f16 v20, v13, v20
	v_mul_f16_e32 v61, 0x394e, v57
	v_mul_f16_e32 v62, 0x3770, v57
	;; [unrolled: 1-line block ×4, first 2 shown]
	v_pk_add_f16 v20, v18, v20
	v_pk_add_f16 v68, v17, v18
	v_pk_add_f16 v17, v17, v18 neg_lo:[0,1] neg_hi:[0,1]
	v_fma_f16 v43, v38, 0x388b, -v39
	v_fmac_f16_e32 v39, 0x388b, v38
	v_fma_f16 v44, v38, 0xb5ac, -v41
	v_fmac_f16_e32 v41, 0xb5ac, v38
	;; [unrolled: 2-line block ×15, first 2 shown]
	v_pk_add_f16 v19, v19, v20
	v_lshrrev_b32_e32 v20, 16, v68
	v_mul_f16_e32 v21, 0xb94e, v17
	v_pk_add_f16 v69, v8, v13
	v_pk_add_f16 v8, v8, v13 neg_lo:[0,1] neg_hi:[0,1]
	v_mul_f16_e32 v13, 0x3bf1, v17
	v_mul_f16_e32 v70, 0xba95, v17
	;; [unrolled: 1-line block ×4, first 2 shown]
	v_pk_add_f16 v14, v14, v19
	v_fma_f16 v19, v20, 0xb9fd, -v21
	v_fmac_f16_e32 v21, 0xb9fd, v20
	v_fma_f16 v71, v20, 0x2fb7, -v13
	v_fmac_f16_e32 v13, 0x2fb7, v20
	;; [unrolled: 2-line block ×4, first 2 shown]
	v_lshrrev_b32_e32 v76, 16, v69
	v_mul_f16_e32 v77, 0xb3a8, v8
	v_fma_f16 v78, v20, 0x3b15, -v74
	v_fmac_f16_e32 v74, 0x3b15, v20
	v_mul_f16_e32 v20, 0x3770, v8
	v_mul_f16_e32 v79, 0xb94e, v8
	;; [unrolled: 1-line block ×4, first 2 shown]
	v_mov_b32_e32 v84, 0xb770
	v_mov_b32_e32 v86, 0xba95
	;; [unrolled: 1-line block ×4, first 2 shown]
	v_pk_add_f16 v5, v5, v14
	v_fma_f16 v14, v76, 0xbbc4, -v77
	v_fmac_f16_e32 v77, 0xbbc4, v76
	v_fma_f16 v80, v76, 0x3b15, -v20
	v_fmac_f16_e32 v20, 0x3b15, v76
	;; [unrolled: 2-line block ×4, first 2 shown]
	v_fma_f16 v87, v76, 0xb5ac, -v83
	v_mul_f16_sdwa v84, v25, v84 dst_sel:DWORD dst_unused:UNUSED_PAD src0_sel:WORD_1 src1_sel:DWORD
	v_fmac_f16_e32 v83, 0xb5ac, v76
	v_mul_f16_sdwa v76, v25, v86 dst_sel:DWORD dst_unused:UNUSED_PAD src0_sel:WORD_1 src1_sel:DWORD
	v_mul_f16_sdwa v90, v25, v88 dst_sel:DWORD dst_unused:UNUSED_PAD src0_sel:WORD_1 src1_sel:DWORD
	v_mov_b32_e32 v91, 0xb94e
	v_mul_f16_sdwa v93, v25, v89 dst_sel:DWORD dst_unused:UNUSED_PAD src0_sel:WORD_1 src1_sel:DWORD
	v_pk_add_f16 v4, v4, v5
	v_fmamk_f16 v5, v24, 0x3b15, v84
	v_fma_f16 v84, v24, 0x3b15, -v84
	v_fmamk_f16 v92, v24, 0x388b, v76
	v_fmamk_f16 v94, v24, 0x2fb7, v90
	v_mul_f16_sdwa v95, v25, v91 dst_sel:DWORD dst_unused:UNUSED_PAD src0_sel:WORD_1 src1_sel:DWORD
	v_pk_mul_f16 v25, 0xb3a8, v25 op_sel_hi:[0,1]
	v_fmamk_f16 v96, v24, 0xb5ac, v93
	v_fma_f16 v76, v24, 0x388b, -v76
	v_fma_f16 v90, v24, 0x2fb7, -v90
	;; [unrolled: 1-line block ×3, first 2 shown]
	v_fmamk_f16 v97, v24, 0xb9fd, v95
	v_fma_f16 v95, v24, 0xb9fd, -v95
	v_pk_fma_f16 v98, 0xbbc4, v24, v25 op_sel:[0,0,1] op_sel_hi:[0,1,0]
	v_pk_fma_f16 v24, 0xbbc4, v24, v25 op_sel:[0,0,1] op_sel_hi:[0,1,0] neg_lo:[0,0,1] neg_hi:[0,0,1]
	v_add_f16_sdwa v25, v29, v1 dst_sel:DWORD dst_unused:UNUSED_PAD src0_sel:DWORD src1_sel:WORD_1
	v_add_f16_e32 v29, v84, v1
	v_add_f16_e32 v84, v92, v1
	;; [unrolled: 1-line block ×4, first 2 shown]
	v_mul_f16_sdwa v96, v35, v86 dst_sel:DWORD dst_unused:UNUSED_PAD src0_sel:WORD_1 src1_sel:DWORD
	v_add_f16_e32 v5, v5, v1
	v_add_f16_sdwa v26, v26, v1 dst_sel:DWORD dst_unused:UNUSED_PAD src0_sel:DWORD src1_sel:WORD_1
	v_add_f16_sdwa v30, v30, v1 dst_sel:DWORD dst_unused:UNUSED_PAD src0_sel:DWORD src1_sel:WORD_1
	v_add_f16_e32 v76, v76, v1
	v_add_f16_sdwa v27, v27, v1 dst_sel:DWORD dst_unused:UNUSED_PAD src0_sel:DWORD src1_sel:WORD_1
	v_add_f16_sdwa v32, v32, v1 dst_sel:DWORD dst_unused:UNUSED_PAD src0_sel:DWORD src1_sel:WORD_1
	;; [unrolled: 3-line block ×3, first 2 shown]
	v_add_f16_e32 v93, v93, v1
	v_add_f16_sdwa v33, v33, v1 dst_sel:DWORD dst_unused:UNUSED_PAD src0_sel:DWORD src1_sel:WORD_1
	v_add_f16_e32 v97, v97, v1
	v_add_f16_sdwa v40, v40, v1 dst_sel:DWORD dst_unused:UNUSED_PAD src0_sel:DWORD src1_sel:WORD_1
	v_add_f16_e32 v95, v95, v1
	v_add_f16_sdwa v36, v36, v1 dst_sel:DWORD dst_unused:UNUSED_PAD src0_sel:DWORD src1_sel:WORD_1
	v_fmamk_f16 v99, v34, 0x388b, v96
	v_pk_add_f16 v98, v98, v1
	v_pk_add_f16 v1, v24, v1
	v_mul_f16_sdwa v24, v35, v89 dst_sel:DWORD dst_unused:UNUSED_PAD src0_sel:WORD_1 src1_sel:DWORD
	v_add_f16_e32 v25, v43, v25
	v_mov_b32_e32 v43, 0xb3a8
	v_fma_f16 v96, v34, 0x388b, -v96
	v_add_f16_e32 v5, v99, v5
	v_fmamk_f16 v99, v34, 0xb5ac, v24
	v_add_f16_e32 v26, v39, v26
	v_fma_f16 v24, v34, 0xb5ac, -v24
	v_mul_f16_sdwa v39, v35, v43 dst_sel:DWORD dst_unused:UNUSED_PAD src0_sel:WORD_1 src1_sel:DWORD
	v_add_f16_e32 v29, v96, v29
	v_mov_b32_e32 v96, 0x394e
	v_add_f16_e32 v30, v44, v30
	v_add_f16_e32 v24, v24, v76
	v_fmamk_f16 v44, v34, 0xbbc4, v39
	v_mov_b32_e32 v76, 0x3bf1
	v_add_f16_e32 v27, v41, v27
	v_mul_f16_sdwa v41, v35, v96 dst_sel:DWORD dst_unused:UNUSED_PAD src0_sel:WORD_1 src1_sel:DWORD
	v_fma_f16 v39, v34, 0xbbc4, -v39
	v_add_f16_e32 v44, v44, v92
	v_mul_f16_sdwa v92, v35, v76 dst_sel:DWORD dst_unused:UNUSED_PAD src0_sel:WORD_1 src1_sel:DWORD
	v_add_f16_e32 v32, v45, v32
	v_fmamk_f16 v45, v34, 0xb9fd, v41
	v_add_f16_e32 v39, v39, v90
	v_pk_mul_f16 v35, 0x3770, v35 op_sel_hi:[0,1]
	v_add_f16_e32 v33, v46, v33
	v_fma_f16 v46, v34, 0x2fb7, -v92
	v_mul_f16_sdwa v90, v3, v88 dst_sel:DWORD dst_unused:UNUSED_PAD src0_sel:WORD_1 src1_sel:DWORD
	v_add_f16_e32 v28, v42, v28
	v_fma_f16 v41, v34, 0xb9fd, -v41
	v_add_f16_e32 v42, v45, v94
	v_fmamk_f16 v45, v34, 0x2fb7, v92
	v_add_f16_e32 v37, v48, v37
	v_pk_fma_f16 v48, 0x3b15, v34, v35 op_sel:[0,0,1] op_sel_hi:[0,1,0]
	v_pk_fma_f16 v34, 0x3b15, v34, v35 op_sel:[0,0,1] op_sel_hi:[0,1,0] neg_lo:[0,0,1] neg_hi:[0,0,1]
	v_add_f16_e32 v35, v51, v40
	v_add_f16_e32 v40, v46, v95
	v_fmamk_f16 v46, v2, 0x2fb7, v90
	v_add_f16_e32 v36, v47, v36
	v_pk_add_f16 v47, v48, v98
	v_pk_add_f16 v1, v34, v1
	v_fma_f16 v34, v2, 0x2fb7, -v90
	v_mul_f16_sdwa v48, v3, v43 dst_sel:DWORD dst_unused:UNUSED_PAD src0_sel:WORD_1 src1_sel:DWORD
	v_add_f16_e32 v5, v46, v5
	v_mov_b32_e32 v46, 0x3b7b
	v_add_f16_e32 v25, v38, v25
	v_add_f16_e32 v29, v34, v29
	v_fmamk_f16 v34, v2, 0xbbc4, v48
	v_add_f16_e32 v26, v50, v26
	v_mul_f16_sdwa v38, v3, v46 dst_sel:DWORD dst_unused:UNUSED_PAD src0_sel:WORD_1 src1_sel:DWORD
	v_fma_f16 v46, v2, 0xbbc4, -v48
	v_mov_b32_e32 v48, 0x3770
	v_add_f16_e32 v23, v23, v32
	v_add_f16_e32 v41, v41, v93
	v_fmamk_f16 v50, v2, 0xb5ac, v38
	v_add_f16_e32 v24, v46, v24
	v_mul_f16_sdwa v46, v3, v48 dst_sel:DWORD dst_unused:UNUSED_PAD src0_sel:WORD_1 src1_sel:DWORD
	v_fma_f16 v38, v2, 0xb5ac, -v38
	v_add_f16_e32 v45, v45, v97
	v_add_f16_e32 v44, v50, v44
	v_mul_f16_sdwa v50, v3, v86 dst_sel:DWORD dst_unused:UNUSED_PAD src0_sel:WORD_1 src1_sel:DWORD
	v_fmamk_f16 v32, v2, 0x3b15, v46
	v_add_f16_e32 v38, v38, v39
	v_fma_f16 v39, v2, 0x3b15, -v46
	v_pk_mul_f16 v3, 0xb94e, v3 op_sel_hi:[0,1]
	v_mul_f16_sdwa v46, v57, v89 dst_sel:DWORD dst_unused:UNUSED_PAD src0_sel:WORD_1 src1_sel:DWORD
	v_add_f16_e32 v32, v32, v42
	v_fmamk_f16 v42, v2, 0x388b, v50
	v_add_f16_e32 v39, v39, v41
	v_add_f16_e32 v84, v99, v84
	;; [unrolled: 1-line block ×5, first 2 shown]
	v_fma_f16 v42, v2, 0x388b, -v50
	v_pk_fma_f16 v45, 0xb9fd, v2, v3 op_sel:[0,0,1] op_sel_hi:[0,1,0]
	v_pk_fma_f16 v2, 0xb9fd, v2, v3 op_sel:[0,0,1] op_sel_hi:[0,1,0] neg_lo:[0,0,1] neg_hi:[0,0,1]
	v_add_f16_e32 v3, v60, v35
	v_add_f16_e32 v34, v34, v84
	;; [unrolled: 1-line block ×3, first 2 shown]
	v_fmamk_f16 v40, v22, 0xb5ac, v46
	v_pk_add_f16 v42, v45, v47
	v_mul_f16_sdwa v45, v57, v96 dst_sel:DWORD dst_unused:UNUSED_PAD src0_sel:WORD_1 src1_sel:DWORD
	v_fma_f16 v46, v22, 0xb5ac, -v46
	v_pk_add_f16 v1, v2, v1
	v_add_f16_e32 v2, v40, v5
	v_add_f16_e32 v5, v49, v25
	v_fmamk_f16 v25, v22, 0xb9fd, v45
	v_fma_f16 v40, v22, 0xb9fd, -v45
	v_mul_f16_sdwa v45, v57, v48 dst_sel:DWORD dst_unused:UNUSED_PAD src0_sel:WORD_1 src1_sel:DWORD
	v_add_f16_e32 v29, v46, v29
	v_mov_b32_e32 v46, 0x33a8
	v_add_f16_e32 v25, v25, v34
	v_add_f16_e32 v24, v40, v24
	v_fmamk_f16 v34, v22, 0x3b15, v45
	v_mul_f16_sdwa v40, v57, v88 dst_sel:DWORD dst_unused:UNUSED_PAD src0_sel:WORD_1 src1_sel:DWORD
	v_fma_f16 v45, v22, 0x3b15, -v45
	v_mul_f16_sdwa v47, v57, v46 dst_sel:DWORD dst_unused:UNUSED_PAD src0_sel:WORD_1 src1_sel:DWORD
	v_add_f16_e32 v3, v18, v3
	v_add_f16_e32 v34, v34, v44
	v_fmamk_f16 v44, v22, 0x2fb7, v40
	v_add_f16_e32 v38, v45, v38
	v_fma_f16 v40, v22, 0x2fb7, -v40
	v_pk_mul_f16 v45, 0x3a95, v57 op_sel_hi:[0,1]
	v_and_b32_e32 v0, 32, v0
	v_add_f16_e32 v32, v44, v32
	v_fmamk_f16 v44, v22, 0xbbc4, v47
	v_add_f16_e32 v39, v40, v39
	v_add_f16_e32 v26, v59, v26
	;; [unrolled: 1-line block ×5, first 2 shown]
	v_fma_f16 v41, v22, 0xbbc4, -v47
	v_pk_fma_f16 v44, 0x388b, v22, v45 op_sel:[0,0,1] op_sel_hi:[0,1,0]
	v_pk_fma_f16 v22, 0x388b, v22, v45 op_sel:[0,0,1] op_sel_hi:[0,1,0] neg_lo:[0,0,1] neg_hi:[0,0,1]
	v_mul_f16_sdwa v45, v17, v91 dst_sel:DWORD dst_unused:UNUSED_PAD src0_sel:WORD_1 src1_sel:DWORD
	v_add_f16_e32 v5, v19, v5
	v_add_f16_e32 v18, v41, v35
	;; [unrolled: 1-line block ×3, first 2 shown]
	v_pk_add_f16 v36, v44, v42
	v_pk_add_f16 v1, v22, v1
	v_fma_f16 v22, v68, 0xb9fd, -v45
	v_mul_f16_sdwa v42, v17, v76 dst_sel:DWORD dst_unused:UNUSED_PAD src0_sel:WORD_1 src1_sel:DWORD
	v_cmp_ne_u32_e64 s0, 0, v0
	v_add_f16_e32 v37, v56, v37
	v_fmamk_f16 v41, v68, 0xb9fd, v45
	v_add_f16_e32 v19, v22, v29
	v_fmamk_f16 v22, v68, 0x2fb7, v42
	v_mul_f16_sdwa v29, v17, v86 dst_sel:DWORD dst_unused:UNUSED_PAD src0_sel:WORD_1 src1_sel:DWORD
	v_fma_f16 v0, v68, 0x2fb7, -v42
	v_mul_f16_sdwa v42, v17, v48 dst_sel:DWORD dst_unused:UNUSED_PAD src0_sel:WORD_1 src1_sel:DWORD
	v_add_f16_e32 v21, v21, v26
	v_mul_f16_sdwa v26, v17, v46 dst_sel:DWORD dst_unused:UNUSED_PAD src0_sel:WORD_1 src1_sel:DWORD
	v_mov_b32_e32 v45, 0x3a95
	v_add_f16_e32 v30, v63, v30
	v_add_f16_e32 v23, v65, v23
	v_add_f16_e32 v22, v22, v25
	v_fmamk_f16 v25, v68, 0x388b, v29
	v_fma_f16 v29, v68, 0x388b, -v29
	v_mul_f16_sdwa v43, v8, v43 dst_sel:DWORD dst_unused:UNUSED_PAD src0_sel:WORD_1 src1_sel:DWORD
	v_add_f16_e32 v13, v13, v27
	v_fmamk_f16 v27, v68, 0x3b15, v42
	v_mul_f16_sdwa v44, v8, v48 dst_sel:DWORD dst_unused:UNUSED_PAD src0_sel:WORD_1 src1_sel:DWORD
	v_mul_f16_sdwa v46, v8, v91 dst_sel:DWORD dst_unused:UNUSED_PAD src0_sel:WORD_1 src1_sel:DWORD
	v_pk_mul_f16 v17, 0xbb7b, v17 op_sel_hi:[0,1]
	v_add_f16_e32 v28, v53, v28
	v_add_f16_e32 v33, v55, v33
	;; [unrolled: 1-line block ×4, first 2 shown]
	v_fmamk_f16 v24, v68, 0xbbc4, v26
	v_mul_f16_sdwa v45, v8, v45 dst_sel:DWORD dst_unused:UNUSED_PAD src0_sel:WORD_1 src1_sel:DWORD
	v_add_f16_e32 v2, v41, v2
	v_cndmask_b32_e64 v41, 0, 0x1a0, s0
	v_add_f16_e32 v30, v71, v30
	v_fma_f16 v26, v68, 0xbbc4, -v26
	v_fma_f16 v42, v68, 0x3b15, -v42
	v_add_f16_e32 v25, v25, v34
	v_fmamk_f16 v34, v69, 0xbbc4, v43
	v_fma_f16 v43, v69, 0xbbc4, -v43
	v_add_f16_e32 v23, v73, v23
	v_add_f16_e32 v29, v29, v38
	v_fmamk_f16 v38, v69, 0x3b15, v44
	v_fmamk_f16 v47, v69, 0xb9fd, v46
	v_mul_f16_sdwa v48, v8, v89 dst_sel:DWORD dst_unused:UNUSED_PAD src0_sel:WORD_1 src1_sel:DWORD
	v_add_f16_e32 v27, v27, v40
	v_pk_fma_f16 v40, 0xb5ac, v68, v17 op_sel:[0,0,1] op_sel_hi:[0,1,0]
	v_pk_fma_f16 v17, 0xb5ac, v68, v17 op_sel:[0,0,1] op_sel_hi:[0,1,0] neg_lo:[0,0,1] neg_hi:[0,0,1]
	v_pk_mul_f16 v8, 0x3bf1, v8 op_sel_hi:[0,1]
	v_add_f16_e32 v28, v62, v28
	v_add_f16_e32 v33, v64, v33
	;; [unrolled: 1-line block ×3, first 2 shown]
	v_fmamk_f16 v32, v69, 0x388b, v45
	v_add_f16_e32 v37, v75, v37
	v_lshl_add_u32 v49, v41, 2, 0
	v_add_f16_e32 v26, v26, v39
	v_fmamk_f16 v39, v69, 0xb5ac, v48
	v_add_f16_e32 v3, v78, v3
	v_add_f16_e32 v42, v42, v18
	v_pk_add_f16 v36, v40, v36
	v_pk_add_f16 v1, v17, v1
	v_add_f16_e32 v2, v34, v2
	v_add_f16_e32 v5, v14, v5
	;; [unrolled: 1-line block ×9, first 2 shown]
	v_pk_fma_f16 v30, 0x2fb7, v69, v8 op_sel:[0,0,1] op_sel_hi:[0,1,0]
	v_pk_fma_f16 v8, 0x2fb7, v69, v8 op_sel:[0,0,1] op_sel_hi:[0,1,0] neg_lo:[0,0,1] neg_hi:[0,0,1]
	v_add_f16_e32 v28, v70, v28
	v_fma_f16 v46, v69, 0xb9fd, -v46
	v_fma_f16 v45, v69, 0x388b, -v45
	;; [unrolled: 1-line block ×3, first 2 shown]
	v_add_f16_e32 v33, v72, v33
	v_add_f16_e32 v35, v74, v35
	v_add_f16_e32 v24, v32, v24
	v_add_f16_e32 v25, v85, v37
	v_fma_f16 v44, v69, 0x3b15, -v44
	v_mad_u32_u24 v50, v31, 52, v49
	v_add_f16_e32 v27, v39, v27
	v_add_f16_e32 v3, v87, v3
	v_pack_b32_f16 v17, v17, v19
	v_pack_b32_f16 v2, v2, v5
	;; [unrolled: 1-line block ×3, first 2 shown]
	v_pk_add_f16 v20, v30, v36
	v_pk_add_f16 v1, v8, v1
	v_add_f16_e32 v22, v46, v29
	v_add_f16_e32 v23, v79, v28
	;; [unrolled: 1-line block ×5, first 2 shown]
	v_pack_b32_f16 v5, v24, v25
	v_add_f16_e32 v8, v83, v35
	v_add_f16_e32 v0, v44, v0
	ds_write2_b32 v50, v2, v17 offset0:1 offset1:2
	ds_write2_b32 v50, v19, v5 offset0:3 offset1:4
	v_pack_b32_f16 v2, v27, v3
	v_bfi_b32 v3, 0xffff, v1, v20
	v_bfi_b32 v1, 0xffff, v20, v1
	v_pack_b32_f16 v5, v26, v28
	v_pack_b32_f16 v8, v29, v8
	;; [unrolled: 1-line block ×4, first 2 shown]
	ds_write2_b32 v50, v4, v2 offset1:5
	ds_write2_b32 v50, v1, v3 offset0:6 offset1:7
	ds_write2_b32 v50, v8, v5 offset0:8 offset1:9
	;; [unrolled: 1-line block ×3, first 2 shown]
	v_mad_i32_i24 v8, 0xffffffd0, v31, v50
	v_pack_b32_f16 v2, v14, v18
	v_lshl_add_u32 v13, v31, 2, v49
	v_lshl_add_u32 v17, v12, 2, v49
	v_lshl_add_u32 v19, v9, 2, v49
	v_add_nc_u32_e32 v4, 0x400, v8
	v_lshl_add_u32 v20, v6, 2, v49
	v_lshl_add_u32 v21, v10, 2, v49
	ds_write_b32 v50, v2 offset:48
	s_waitcnt lgkmcnt(0)
	s_barrier
	buffer_gl0_inv
	ds_read2_b32 v[0:1], v8 offset0:208 offset1:240
	ds_read2_b32 v[2:3], v4 offset0:16 offset1:48
	;; [unrolled: 1-line block ×3, first 2 shown]
	v_lshl_add_u32 v23, v11, 2, v49
	ds_read_b32 v30, v13
	ds_read_b32 v22, v17
	ds_read_b32 v26, v19
	ds_read_b32 v28, v20
	ds_read_b32 v36, v21
	ds_read_b32 v35, v23
	v_cmp_gt_u32_e64 s0, 16, v31
	v_lshlrev_b32_e32 v24, 2, v41
                                        ; implicit-def: $vgpr19
                                        ; implicit-def: $vgpr17
	s_and_saveexec_b32 s1, s0
	s_cbranch_execz .LBB0_15
; %bb.14:
	v_lshlrev_b32_e32 v14, 2, v7
	v_add3_u32 v14, 0, v14, v24
	ds_read_b32 v14, v14
	ds_read_b32 v17, v8 offset:1600
	s_waitcnt lgkmcnt(1)
	v_lshrrev_b32_e32 v18, 16, v14
	s_waitcnt lgkmcnt(0)
	v_lshrrev_b32_e32 v19, 16, v17
.LBB0_15:
	s_or_b32 exec_lo, exec_lo, s1
	v_and_b32_e32 v20, 0xff, v12
	v_mul_lo_u16 v21, v31, 20
	v_and_b32_e32 v32, 0xff, v7
	v_and_b32_e32 v27, 0xff, v10
	;; [unrolled: 1-line block ×5, first 2 shown]
	v_mul_lo_u16 v20, 0x4f, v20
	v_lshrrev_b16 v21, 8, v21
	v_mul_lo_u16 v32, 0x4f, v32
	v_mul_lo_u16 v27, 0x4f, v27
	;; [unrolled: 1-line block ×4, first 2 shown]
	v_lshrrev_b16 v20, 10, v20
	v_mul_lo_u16 v25, 0x4f, v25
	v_mul_lo_u16 v33, v21, 13
	v_lshrrev_b16 v37, 10, v32
	v_lshrrev_b16 v27, 10, v27
	;; [unrolled: 1-line block ×3, first 2 shown]
	v_mul_lo_u16 v34, v20, 13
	v_lshrrev_b16 v23, 10, v23
	v_lshrrev_b16 v25, 10, v25
	v_sub_nc_u16 v32, v31, v33
	v_mul_lo_u16 v33, v37, 13
	v_mul_lo_u16 v39, v27, 13
	v_mul_lo_u16 v40, v29, 13
	v_sub_nc_u16 v12, v12, v34
	v_mul_lo_u16 v34, v23, 13
	v_mul_lo_u16 v38, v25, 13
	v_sub_nc_u16 v7, v7, v33
	v_mov_b32_e32 v33, 2
	v_sub_nc_u16 v10, v10, v39
	v_sub_nc_u16 v11, v11, v40
	;; [unrolled: 1-line block ×4, first 2 shown]
	v_lshlrev_b32_sdwa v6, v33, v7 dst_sel:DWORD dst_unused:UNUSED_PAD src0_sel:DWORD src1_sel:BYTE_0
	v_lshlrev_b32_sdwa v7, v33, v32 dst_sel:DWORD dst_unused:UNUSED_PAD src0_sel:DWORD src1_sel:BYTE_0
	;; [unrolled: 1-line block ×7, first 2 shown]
	s_clause 0x6
	global_load_dword v34, v6, s[8:9]
	global_load_dword v33, v7, s[8:9]
	;; [unrolled: 1-line block ×7, first 2 shown]
	v_and_b32_e32 v21, 0xffff, v21
	v_and_b32_e32 v20, 0xffff, v20
	;; [unrolled: 1-line block ×6, first 2 shown]
	v_mad_u32_u24 v21, 0x68, v21, 0
	v_mad_u32_u24 v20, 0x68, v20, 0
	;; [unrolled: 1-line block ×6, first 2 shown]
	v_add3_u32 v7, v21, v7, v24
	v_add3_u32 v12, v20, v12, v24
	;; [unrolled: 1-line block ×6, first 2 shown]
	s_waitcnt vmcnt(0) lgkmcnt(0)
	s_barrier
	buffer_gl0_inv
	v_pk_mul_f16 v23, v33, v0 op_sel:[0,1]
	v_pk_mul_f16 v25, v38, v4 op_sel:[0,1]
	;; [unrolled: 1-line block ×4, first 2 shown]
	v_mul_f16_sdwa v20, v19, v34 dst_sel:DWORD dst_unused:UNUSED_PAD src0_sel:DWORD src1_sel:WORD_1
	v_mul_f16_sdwa v21, v17, v34 dst_sel:DWORD dst_unused:UNUSED_PAD src0_sel:DWORD src1_sel:WORD_1
	v_pk_mul_f16 v32, v41, v2 op_sel:[0,1]
	v_pk_mul_f16 v44, v42, v1 op_sel:[0,1]
	v_fmac_f16_e32 v20, v17, v34
	v_fma_f16 v17, v19, v34, -v21
	v_pk_fma_f16 v19, v33, v0, v23 op_sel:[0,0,1] op_sel_hi:[1,0,0] neg_lo:[1,0,0] neg_hi:[1,0,0]
	v_pk_fma_f16 v0, v33, v0, v23 op_sel:[0,0,1] op_sel_hi:[1,0,0]
	v_pk_fma_f16 v21, v38, v4, v25 op_sel:[0,0,1] op_sel_hi:[1,0,0] neg_lo:[1,0,0] neg_hi:[1,0,0]
	v_pk_fma_f16 v4, v38, v4, v25 op_sel:[0,0,1] op_sel_hi:[1,0,0]
	;; [unrolled: 2-line block ×3, first 2 shown]
	v_pk_fma_f16 v25, v40, v3, v29 op_sel:[0,0,1] op_sel_hi:[1,1,0]
	v_pk_fma_f16 v3, v40, v3, v29 op_sel:[0,0,1] op_sel_hi:[1,0,0] neg_lo:[1,0,0] neg_hi:[1,0,0]
	v_pk_fma_f16 v27, v41, v2, v32 op_sel:[0,0,1] op_sel_hi:[1,1,0]
	v_pk_fma_f16 v2, v41, v2, v32 op_sel:[0,0,1] op_sel_hi:[1,0,0] neg_lo:[1,0,0] neg_hi:[1,0,0]
	;; [unrolled: 2-line block ×3, first 2 shown]
	v_bfi_b32 v0, 0xffff, v0, v19
	v_bfi_b32 v4, 0xffff, v4, v21
	;; [unrolled: 1-line block ×6, first 2 shown]
	v_sub_f16_e32 v23, v14, v20
	v_sub_f16_e32 v33, v18, v17
	v_pk_add_f16 v17, v30, v0 neg_lo:[0,1] neg_hi:[0,1]
	v_pk_add_f16 v25, v36, v4 neg_lo:[0,1] neg_hi:[0,1]
	;; [unrolled: 1-line block ×6, first 2 shown]
	v_fma_f16 v20, v14, 2.0, -v23
	v_fma_f16 v34, v18, 2.0, -v33
	v_pk_fma_f16 v32, v30, 2.0, v17 op_sel_hi:[1,0,1] neg_lo:[0,0,1] neg_hi:[0,0,1]
	v_pk_fma_f16 v30, v36, 2.0, v25 op_sel_hi:[1,0,1] neg_lo:[0,0,1] neg_hi:[0,0,1]
	;; [unrolled: 1-line block ×6, first 2 shown]
	ds_write2_b32 v7, v32, v17 offset1:13
	ds_write2_b32 v12, v18, v21 offset1:13
	;; [unrolled: 1-line block ×6, first 2 shown]
	s_and_saveexec_b32 s1, s0
	s_cbranch_execz .LBB0_17
; %bb.16:
	v_and_b32_e32 v0, 0xffff, v37
	v_perm_b32 v1, v34, v20, 0x5040100
	v_perm_b32 v2, v33, v23, 0x5040100
	v_mad_u32_u24 v0, 0x68, v0, 0
	v_add3_u32 v0, v0, v6, v24
	ds_write2_b32 v0, v1, v2 offset1:13
.LBB0_17:
	s_or_b32 exec_lo, exec_lo, s1
	v_cmp_gt_u32_e64 s0, 26, v31
	v_lshrrev_b32_e32 v40, 16, v17
	v_lshrrev_b32_e32 v36, 16, v28
	;; [unrolled: 1-line block ×7, first 2 shown]
	s_waitcnt lgkmcnt(0)
	s_barrier
	buffer_gl0_inv
                                        ; implicit-def: $vgpr42
                                        ; implicit-def: $vgpr41
                                        ; implicit-def: $vgpr39
	s_and_saveexec_b32 s1, s0
	s_cbranch_execnz .LBB0_20
; %bb.18:
	s_or_b32 exec_lo, exec_lo, s1
	s_and_b32 s0, vcc_lo, s0
	s_and_saveexec_b32 s1, s0
	s_cbranch_execnz .LBB0_21
.LBB0_19:
	s_endpgm
.LBB0_20:
	v_add_nc_u32_e32 v0, 0x400, v8
	ds_read_b32 v39, v8 offset:1560
	ds_read2_b32 v[17:18], v8 offset0:26 offset1:52
	ds_read2_b32 v[21:22], v8 offset0:78 offset1:104
	;; [unrolled: 1-line block ×6, first 2 shown]
	v_add_nc_u32_e32 v0, 0x200, v8
	ds_read_b32 v32, v13
	ds_read2_b32 v[25:26], v0 offset0:106 offset1:132
	s_waitcnt lgkmcnt(6)
	v_lshrrev_b32_e32 v43, 16, v21
	v_lshrrev_b32_e32 v41, 16, v39
	;; [unrolled: 1-line block ×5, first 2 shown]
	s_waitcnt lgkmcnt(5)
	v_lshrrev_b32_e32 v35, 16, v27
	v_lshrrev_b32_e32 v36, 16, v28
	s_waitcnt lgkmcnt(4)
	v_lshrrev_b32_e32 v34, 16, v20
	s_waitcnt lgkmcnt(3)
	v_lshrrev_b32_e32 v33, 16, v23
	v_lshrrev_b32_e32 v42, 16, v24
	s_waitcnt lgkmcnt(2)
	v_lshrrev_b32_e32 v44, 16, v29
	s_or_b32 exec_lo, exec_lo, s1
	s_and_b32 s0, vcc_lo, s0
	s_and_saveexec_b32 s1, s0
	s_cbranch_execz .LBB0_19
.LBB0_21:
	v_mul_u32_u24_e32 v0, 15, v31
	v_add_nc_u32_e32 v78, 26, v31
	v_add_nc_u32_e32 v79, 52, v31
	;; [unrolled: 1-line block ×4, first 2 shown]
	v_lshlrev_b32_e32 v12, 2, v0
	v_add_nc_u32_e32 v82, 0x82, v31
	v_mad_u64_u32 v[48:49], null, s2, v31, 0
	v_add_nc_u32_e32 v83, 0x9c, v31
	s_clause 0x3
	global_load_dwordx4 v[0:3], v12, s[8:9] offset:52
	global_load_dwordx4 v[4:7], v12, s[8:9] offset:84
	;; [unrolled: 1-line block ×3, first 2 shown]
	global_load_dwordx3 v[12:14], v12, s[8:9] offset:100
	v_mad_u64_u32 v[50:51], null, s2, v78, 0
	v_add_nc_u32_e32 v84, 0xb6, v31
	v_mad_u64_u32 v[52:53], null, s2, v79, 0
	v_add_nc_u32_e32 v85, 0xd0, v31
	v_mad_u64_u32 v[54:55], null, s2, v80, 0
	v_mad_u64_u32 v[56:57], null, s2, v81, 0
	;; [unrolled: 1-line block ×4, first 2 shown]
	v_add_nc_u32_e32 v86, 0xea, v31
	v_mad_u64_u32 v[62:63], null, s2, v84, 0
	v_add_nc_u32_e32 v87, 0x104, v31
	v_mad_u64_u32 v[64:65], null, s2, v85, 0
	v_mad_u64_u32 v[76:77], null, s3, v31, v[49:50]
	v_mov_b32_e32 v49, v51
	v_mov_b32_e32 v51, v53
	v_add_nc_u32_e32 v88, 0x11e, v31
	v_mov_b32_e32 v53, v55
	v_mad_u64_u32 v[66:67], null, s2, v86, 0
	v_mov_b32_e32 v55, v57
	v_mad_u64_u32 v[68:69], null, s2, v87, 0
	v_mov_b32_e32 v57, v59
	v_mov_b32_e32 v59, v61
	v_mad_u64_u32 v[77:78], null, s3, v78, v[49:50]
	v_add_nc_u32_e32 v89, 0x138, v31
	v_mov_b32_e32 v61, v63
	v_mad_u64_u32 v[78:79], null, s3, v79, v[51:52]
	v_mad_u64_u32 v[70:71], null, s2, v88, 0
	v_mov_b32_e32 v49, v65
	v_mad_u64_u32 v[79:80], null, s3, v80, v[53:54]
	v_mad_u64_u32 v[80:81], null, s3, v81, v[55:56]
	;; [unrolled: 1-line block ×5, first 2 shown]
	v_mov_b32_e32 v51, v67
	v_mad_u64_u32 v[83:84], null, s3, v84, v[61:62]
	v_mov_b32_e32 v53, v69
	v_mad_u64_u32 v[84:85], null, s3, v85, v[49:50]
	;; [unrolled: 2-line block ×3, first 2 shown]
	v_mad_u64_u32 v[86:87], null, s3, v87, v[53:54]
	v_mov_b32_e32 v51, v73
	s_waitcnt lgkmcnt(0)
	v_lshrrev_b32_e32 v45, 16, v25
	v_lshrrev_b32_e32 v46, 16, v19
	;; [unrolled: 1-line block ×4, first 2 shown]
	v_mad_u64_u32 v[87:88], null, s3, v88, v[55:56]
	v_mov_b32_e32 v53, v78
	v_mov_b32_e32 v55, v79
	;; [unrolled: 1-line block ×4, first 2 shown]
	v_mad_u64_u32 v[88:89], null, s3, v89, v[51:52]
	v_mov_b32_e32 v49, v76
	v_mov_b32_e32 v51, v77
	;; [unrolled: 1-line block ×7, first 2 shown]
	v_lshrrev_b32_e32 v91, 16, v32
	v_lshlrev_b64 v[48:49], 2, v[48:49]
	v_add_co_u32 v15, vcc_lo, s12, v15
	v_add_co_ci_u32_e32 v16, vcc_lo, s13, v16, vcc_lo
	v_lshlrev_b64 v[50:51], 2, v[50:51]
	v_lshlrev_b64 v[52:53], 2, v[52:53]
	v_add_co_u32 v48, vcc_lo, v15, v48
	v_add_co_ci_u32_e32 v49, vcc_lo, v16, v49, vcc_lo
	v_lshlrev_b64 v[54:55], 2, v[54:55]
	v_add_co_u32 v50, vcc_lo, v15, v50
	v_add_co_ci_u32_e32 v51, vcc_lo, v16, v51, vcc_lo
	;; [unrolled: 3-line block ×6, first 2 shown]
	v_lshlrev_b64 v[64:65], 2, v[64:65]
	v_add_co_u32 v60, vcc_lo, v15, v60
	v_add_nc_u32_e32 v92, 0x152, v31
	v_add_co_ci_u32_e32 v61, vcc_lo, v16, v61, vcc_lo
	v_lshlrev_b64 v[66:67], 2, v[66:67]
	v_add_co_u32 v62, vcc_lo, v15, v62
	v_add_co_ci_u32_e32 v63, vcc_lo, v16, v63, vcc_lo
	v_add_nc_u32_e32 v93, 0x16c, v31
	v_mad_u64_u32 v[74:75], null, s2, v92, 0
	v_add_co_u32 v64, vcc_lo, v15, v64
	v_add_co_ci_u32_e32 v65, vcc_lo, v16, v65, vcc_lo
	v_add_co_u32 v66, vcc_lo, v15, v66
	v_add_co_ci_u32_e32 v67, vcc_lo, v16, v67, vcc_lo
	v_lshlrev_b64 v[68:69], 2, v[68:69]
	v_add_co_u32 v68, vcc_lo, v15, v68
	v_add_co_ci_u32_e32 v69, vcc_lo, v16, v69, vcc_lo
	s_waitcnt vmcnt(3)
	v_mul_f16_sdwa v71, v17, v0 dst_sel:DWORD dst_unused:UNUSED_PAD src0_sel:DWORD src1_sel:WORD_1
	s_waitcnt vmcnt(2)
	v_mul_f16_sdwa v73, v25, v4 dst_sel:DWORD dst_unused:UNUSED_PAD src0_sel:DWORD src1_sel:WORD_1
	v_mul_f16_sdwa v78, v21, v2 dst_sel:DWORD dst_unused:UNUSED_PAD src0_sel:DWORD src1_sel:WORD_1
	;; [unrolled: 1-line block ×3, first 2 shown]
	s_waitcnt vmcnt(0)
	v_mul_f16_sdwa v81, v41, v14 dst_sel:DWORD dst_unused:UNUSED_PAD src0_sel:DWORD src1_sel:WORD_1
	v_mul_f16_sdwa v84, v29, v10 dst_sel:DWORD dst_unused:UNUSED_PAD src0_sel:DWORD src1_sel:WORD_1
	;; [unrolled: 1-line block ×20, first 2 shown]
	v_fma_f16 v40, v40, v0, -v71
	v_mul_f16_sdwa v71, v45, v4 dst_sel:DWORD dst_unused:UNUSED_PAD src0_sel:DWORD src1_sel:WORD_1
	v_fma_f16 v45, v45, v4, -v73
	v_mul_f16_sdwa v73, v27, v8 dst_sel:DWORD dst_unused:UNUSED_PAD src0_sel:DWORD src1_sel:WORD_1
	;; [unrolled: 2-line block ×4, first 2 shown]
	v_fmac_f16_e32 v81, v39, v14
	v_mul_f16_sdwa v39, v38, v3 dst_sel:DWORD dst_unused:UNUSED_PAD src0_sel:DWORD src1_sel:WORD_1
	v_fma_f16 v44, v44, v10, -v84
	v_mul_f16_sdwa v84, v34, v7 dst_sel:DWORD dst_unused:UNUSED_PAD src0_sel:DWORD src1_sel:WORD_1
	v_fmac_f16_e32 v76, v27, v8
	v_fmac_f16_e32 v77, v23, v12
	;; [unrolled: 1-line block ×5, first 2 shown]
	v_fma_f16 v2, v41, v14, -v85
	v_fmac_f16_e32 v86, v30, v11
	v_fma_f16 v6, v38, v3, -v89
	v_fma_f16 v10, v34, v7, -v94
	;; [unrolled: 1-line block ×4, first 2 shown]
	v_fmac_f16_e32 v97, v28, v9
	v_fmac_f16_e32 v98, v24, v13
	;; [unrolled: 1-line block ×4, first 2 shown]
	v_fma_f16 v1, v36, v9, -v101
	v_fma_f16 v5, v42, v13, -v102
	v_fmac_f16_e32 v103, v17, v0
	v_fmac_f16_e32 v71, v25, v4
	v_fma_f16 v0, v35, v8, -v73
	v_fma_f16 v4, v33, v12, -v78
	;; [unrolled: 1-line block ×3, first 2 shown]
	v_fmac_f16_e32 v39, v22, v3
	v_fmac_f16_e32 v84, v20, v7
	v_sub_f16_e32 v3, v40, v45
	v_sub_f16_e32 v7, v76, v77
	;; [unrolled: 1-line block ×18, first 2 shown]
	v_add_f16_e32 v24, v12, v2
	v_add_f16_e32 v25, v13, v10
	v_sub_f16_e32 v26, v17, v18
	v_add_f16_e32 v27, v19, v5
	v_add_f16_e32 v28, v20, v4
	v_sub_f16_e32 v29, v8, v21
	v_fma_f16 v30, v40, 2.0, -v3
	v_fma_f16 v0, v0, 2.0, -v4
	;; [unrolled: 1-line block ×16, first 2 shown]
	v_fmamk_f16 v35, v23, 0x39a8, v22
	v_fmamk_f16 v36, v27, 0x39a8, v25
	;; [unrolled: 1-line block ×4, first 2 shown]
	v_fma_f16 v3, v3, 2.0, -v22
	v_fma_f16 v9, v9, 2.0, -v23
	;; [unrolled: 1-line block ×8, first 2 shown]
	v_sub_f16_e32 v0, v30, v0
	v_sub_f16_e32 v11, v4, v11
	;; [unrolled: 1-line block ×8, first 2 shown]
	v_fmac_f16_e32 v35, 0xb9a8, v24
	v_fmac_f16_e32 v36, 0x39a8, v26
	;; [unrolled: 1-line block ×4, first 2 shown]
	v_fmamk_f16 v23, v9, 0xb9a8, v3
	v_fmamk_f16 v24, v19, 0xb9a8, v13
	;; [unrolled: 1-line block ×4, first 2 shown]
	v_sub_f16_e32 v39, v0, v11
	v_add_f16_e32 v40, v21, v1
	v_add_f16_e32 v41, v7, v2
	v_sub_f16_e32 v42, v6, v18
	v_fma_f16 v32, v32, 2.0, -v21
	v_fma_f16 v10, v10, 2.0, -v18
	;; [unrolled: 1-line block ×10, first 2 shown]
	v_fmac_f16_e32 v23, 0xb9a8, v12
	v_fmac_f16_e32 v24, 0x39a8, v17
	;; [unrolled: 1-line block ×4, first 2 shown]
	v_fmamk_f16 v17, v37, 0x3b64, v36
	v_fmamk_f16 v19, v35, 0x3b64, v38
	;; [unrolled: 1-line block ×3, first 2 shown]
	v_fma_f16 v0, v0, 2.0, -v39
	v_fma_f16 v9, v21, 2.0, -v40
	;; [unrolled: 1-line block ×4, first 2 shown]
	v_sub_f16_e32 v10, v32, v10
	v_sub_f16_e32 v2, v18, v2
	v_fma_f16 v14, v25, 2.0, -v36
	v_fma_f16 v25, v29, 2.0, -v38
	v_fmamk_f16 v29, v39, 0x39a8, v42
	v_sub_f16_e32 v1, v30, v1
	v_sub_f16_e32 v4, v5, v4
	v_fmac_f16_e32 v17, 0x361f, v35
	v_fmac_f16_e32 v19, 0xb61f, v37
	;; [unrolled: 1-line block ×3, first 2 shown]
	v_fmamk_f16 v35, v7, 0xb9a8, v9
	v_fmamk_f16 v37, v0, 0xb9a8, v6
	v_add_f16_e32 v39, v2, v10
	v_fma_f16 v13, v13, 2.0, -v24
	v_fma_f16 v3, v3, 2.0, -v23
	;; [unrolled: 1-line block ×4, first 2 shown]
	v_fmac_f16_e32 v29, 0xb9a8, v41
	v_sub_f16_e32 v41, v1, v4
	v_fma_f16 v32, v32, 2.0, -v10
	v_fma_f16 v4, v5, 2.0, -v4
	;; [unrolled: 1-line block ×4, first 2 shown]
	v_fmac_f16_e32 v35, 0x39a8, v0
	v_fmac_f16_e32 v37, 0xb9a8, v7
	v_fma_f16 v0, v10, 2.0, -v39
	v_fmamk_f16 v7, v20, 0xbb64, v13
	v_fmamk_f16 v10, v3, 0xbb64, v8
	;; [unrolled: 1-line block ×6, first 2 shown]
	v_sub_f16_e32 v4, v32, v4
	v_sub_f16_e32 v2, v5, v2
	v_fmac_f16_e32 v7, 0x361f, v3
	v_fmac_f16_e32 v10, 0xb61f, v20
	;; [unrolled: 1-line block ×6, first 2 shown]
	v_fma_f16 v3, v32, 2.0, -v4
	v_fma_f16 v5, v5, 2.0, -v2
	;; [unrolled: 1-line block ×15, first 2 shown]
	v_pack_b32_f16 v3, v3, v5
	v_pack_b32_f16 v5, v13, v8
	;; [unrolled: 1-line block ×10, first 2 shown]
	global_store_dword v[48:49], v3, off
	global_store_dword v[50:51], v5, off
	;; [unrolled: 1-line block ×10, first 2 shown]
	v_mad_u64_u32 v[1:2], null, s2, v93, 0
	v_mov_b32_e32 v0, v75
	v_add_nc_u32_e32 v11, 0x186, v31
	v_mov_b32_e32 v71, v87
	v_mov_b32_e32 v73, v88
	v_pack_b32_f16 v14, v12, v21
	v_pack_b32_f16 v18, v35, v37
	v_mad_u64_u32 v[3:4], null, s3, v92, v[0:1]
	v_mad_u64_u32 v[6:7], null, s2, v11, 0
	v_mov_b32_e32 v0, v2
	v_lshlrev_b64 v[4:5], 2, v[70:71]
	global_store_dword v[68:69], v18, off
	v_pack_b32_f16 v18, v39, v41
	v_mov_b32_e32 v75, v3
	v_mad_u64_u32 v[2:3], null, s3, v93, v[0:1]
	v_mov_b32_e32 v0, v7
	v_lshlrev_b64 v[7:8], 2, v[72:73]
	v_add_co_u32 v3, vcc_lo, v15, v4
	v_add_co_ci_u32_e32 v4, vcc_lo, v16, v5, vcc_lo
	v_mad_u64_u32 v[11:12], null, s3, v11, v[0:1]
	v_lshlrev_b64 v[9:10], 2, v[74:75]
	v_add_co_u32 v12, vcc_lo, v15, v7
	v_lshlrev_b64 v[0:1], 2, v[1:2]
	v_add_co_ci_u32_e32 v13, vcc_lo, v16, v8, vcc_lo
	v_mov_b32_e32 v7, v11
	v_add_co_u32 v8, vcc_lo, v15, v9
	v_add_co_ci_u32_e32 v9, vcc_lo, v16, v10, vcc_lo
	v_lshlrev_b64 v[5:6], 2, v[6:7]
	v_add_co_u32 v0, vcc_lo, v15, v0
	v_add_co_ci_u32_e32 v1, vcc_lo, v16, v1, vcc_lo
	v_pack_b32_f16 v2, v33, v34
	v_add_co_u32 v5, vcc_lo, v15, v5
	v_pack_b32_f16 v7, v28, v29
	v_add_co_ci_u32_e32 v6, vcc_lo, v16, v6, vcc_lo
	v_pack_b32_f16 v10, v17, v19
	global_store_dword v[3:4], v14, off
	global_store_dword v[12:13], v18, off
	;; [unrolled: 1-line block ×5, first 2 shown]
	s_endpgm
	.section	.rodata,"a",@progbits
	.p2align	6, 0x0
	.amdhsa_kernel fft_rtc_back_len416_factors_13_2_16_wgs_64_tpt_32_half_ip_CI_sbrr_dirReg
		.amdhsa_group_segment_fixed_size 0
		.amdhsa_private_segment_fixed_size 0
		.amdhsa_kernarg_size 88
		.amdhsa_user_sgpr_count 6
		.amdhsa_user_sgpr_private_segment_buffer 1
		.amdhsa_user_sgpr_dispatch_ptr 0
		.amdhsa_user_sgpr_queue_ptr 0
		.amdhsa_user_sgpr_kernarg_segment_ptr 1
		.amdhsa_user_sgpr_dispatch_id 0
		.amdhsa_user_sgpr_flat_scratch_init 0
		.amdhsa_user_sgpr_private_segment_size 0
		.amdhsa_wavefront_size32 1
		.amdhsa_uses_dynamic_stack 0
		.amdhsa_system_sgpr_private_segment_wavefront_offset 0
		.amdhsa_system_sgpr_workgroup_id_x 1
		.amdhsa_system_sgpr_workgroup_id_y 0
		.amdhsa_system_sgpr_workgroup_id_z 0
		.amdhsa_system_sgpr_workgroup_info 0
		.amdhsa_system_vgpr_workitem_id 0
		.amdhsa_next_free_vgpr 104
		.amdhsa_next_free_sgpr 23
		.amdhsa_reserve_vcc 1
		.amdhsa_reserve_flat_scratch 0
		.amdhsa_float_round_mode_32 0
		.amdhsa_float_round_mode_16_64 0
		.amdhsa_float_denorm_mode_32 3
		.amdhsa_float_denorm_mode_16_64 3
		.amdhsa_dx10_clamp 1
		.amdhsa_ieee_mode 1
		.amdhsa_fp16_overflow 0
		.amdhsa_workgroup_processor_mode 1
		.amdhsa_memory_ordered 1
		.amdhsa_forward_progress 0
		.amdhsa_shared_vgpr_count 0
		.amdhsa_exception_fp_ieee_invalid_op 0
		.amdhsa_exception_fp_denorm_src 0
		.amdhsa_exception_fp_ieee_div_zero 0
		.amdhsa_exception_fp_ieee_overflow 0
		.amdhsa_exception_fp_ieee_underflow 0
		.amdhsa_exception_fp_ieee_inexact 0
		.amdhsa_exception_int_div_zero 0
	.end_amdhsa_kernel
	.text
.Lfunc_end0:
	.size	fft_rtc_back_len416_factors_13_2_16_wgs_64_tpt_32_half_ip_CI_sbrr_dirReg, .Lfunc_end0-fft_rtc_back_len416_factors_13_2_16_wgs_64_tpt_32_half_ip_CI_sbrr_dirReg
                                        ; -- End function
	.section	.AMDGPU.csdata,"",@progbits
; Kernel info:
; codeLenInByte = 9184
; NumSgprs: 25
; NumVgprs: 104
; ScratchSize: 0
; MemoryBound: 0
; FloatMode: 240
; IeeeMode: 1
; LDSByteSize: 0 bytes/workgroup (compile time only)
; SGPRBlocks: 3
; VGPRBlocks: 12
; NumSGPRsForWavesPerEU: 25
; NumVGPRsForWavesPerEU: 104
; Occupancy: 9
; WaveLimiterHint : 1
; COMPUTE_PGM_RSRC2:SCRATCH_EN: 0
; COMPUTE_PGM_RSRC2:USER_SGPR: 6
; COMPUTE_PGM_RSRC2:TRAP_HANDLER: 0
; COMPUTE_PGM_RSRC2:TGID_X_EN: 1
; COMPUTE_PGM_RSRC2:TGID_Y_EN: 0
; COMPUTE_PGM_RSRC2:TGID_Z_EN: 0
; COMPUTE_PGM_RSRC2:TIDIG_COMP_CNT: 0
	.text
	.p2alignl 6, 3214868480
	.fill 48, 4, 3214868480
	.type	__hip_cuid_b8c877698fd84660,@object ; @__hip_cuid_b8c877698fd84660
	.section	.bss,"aw",@nobits
	.globl	__hip_cuid_b8c877698fd84660
__hip_cuid_b8c877698fd84660:
	.byte	0                               ; 0x0
	.size	__hip_cuid_b8c877698fd84660, 1

	.ident	"AMD clang version 19.0.0git (https://github.com/RadeonOpenCompute/llvm-project roc-6.4.0 25133 c7fe45cf4b819c5991fe208aaa96edf142730f1d)"
	.section	".note.GNU-stack","",@progbits
	.addrsig
	.addrsig_sym __hip_cuid_b8c877698fd84660
	.amdgpu_metadata
---
amdhsa.kernels:
  - .args:
      - .actual_access:  read_only
        .address_space:  global
        .offset:         0
        .size:           8
        .value_kind:     global_buffer
      - .offset:         8
        .size:           8
        .value_kind:     by_value
      - .actual_access:  read_only
        .address_space:  global
        .offset:         16
        .size:           8
        .value_kind:     global_buffer
      - .actual_access:  read_only
        .address_space:  global
        .offset:         24
        .size:           8
        .value_kind:     global_buffer
      - .offset:         32
        .size:           8
        .value_kind:     by_value
      - .actual_access:  read_only
        .address_space:  global
        .offset:         40
        .size:           8
        .value_kind:     global_buffer
      - .actual_access:  read_only
        .address_space:  global
        .offset:         48
        .size:           8
        .value_kind:     global_buffer
      - .offset:         56
        .size:           4
        .value_kind:     by_value
      - .actual_access:  read_only
        .address_space:  global
        .offset:         64
        .size:           8
        .value_kind:     global_buffer
      - .actual_access:  read_only
        .address_space:  global
        .offset:         72
        .size:           8
        .value_kind:     global_buffer
      - .address_space:  global
        .offset:         80
        .size:           8
        .value_kind:     global_buffer
    .group_segment_fixed_size: 0
    .kernarg_segment_align: 8
    .kernarg_segment_size: 88
    .language:       OpenCL C
    .language_version:
      - 2
      - 0
    .max_flat_workgroup_size: 64
    .name:           fft_rtc_back_len416_factors_13_2_16_wgs_64_tpt_32_half_ip_CI_sbrr_dirReg
    .private_segment_fixed_size: 0
    .sgpr_count:     25
    .sgpr_spill_count: 0
    .symbol:         fft_rtc_back_len416_factors_13_2_16_wgs_64_tpt_32_half_ip_CI_sbrr_dirReg.kd
    .uniform_work_group_size: 1
    .uses_dynamic_stack: false
    .vgpr_count:     104
    .vgpr_spill_count: 0
    .wavefront_size: 32
    .workgroup_processor_mode: 1
amdhsa.target:   amdgcn-amd-amdhsa--gfx1030
amdhsa.version:
  - 1
  - 2
...

	.end_amdgpu_metadata
